;; amdgpu-corpus repo=ROCm/rocFFT kind=compiled arch=gfx950 opt=O3
	.text
	.amdgcn_target "amdgcn-amd-amdhsa--gfx950"
	.amdhsa_code_object_version 6
	.protected	fft_rtc_back_len200_factors_10_10_2_wgs_60_tpt_20_halfLds_dp_op_CI_CI_unitstride_sbrr_dirReg ; -- Begin function fft_rtc_back_len200_factors_10_10_2_wgs_60_tpt_20_halfLds_dp_op_CI_CI_unitstride_sbrr_dirReg
	.globl	fft_rtc_back_len200_factors_10_10_2_wgs_60_tpt_20_halfLds_dp_op_CI_CI_unitstride_sbrr_dirReg
	.p2align	8
	.type	fft_rtc_back_len200_factors_10_10_2_wgs_60_tpt_20_halfLds_dp_op_CI_CI_unitstride_sbrr_dirReg,@function
fft_rtc_back_len200_factors_10_10_2_wgs_60_tpt_20_halfLds_dp_op_CI_CI_unitstride_sbrr_dirReg: ; @fft_rtc_back_len200_factors_10_10_2_wgs_60_tpt_20_halfLds_dp_op_CI_CI_unitstride_sbrr_dirReg
; %bb.0:
	s_load_dwordx4 s[4:7], s[0:1], 0x58
	s_load_dwordx4 s[8:11], s[0:1], 0x0
	;; [unrolled: 1-line block ×3, first 2 shown]
	v_mul_u32_u24_e32 v1, 0xccd, v0
	v_lshrrev_b32_e32 v2, 16, v1
	v_mad_u64_u32 v[46:47], s[2:3], s2, 3, v[2:3]
	v_mov_b32_e32 v2, 0
	v_mov_b32_e32 v47, v2
	s_waitcnt lgkmcnt(0)
	v_cmp_lt_u64_e64 s[2:3], s[10:11], 2
	v_mov_b64_e32 v[4:5], 0
	s_and_b64 vcc, exec, s[2:3]
	v_mov_b64_e32 v[40:41], v[4:5]
	v_mov_b64_e32 v[44:45], v[46:47]
	s_cbranch_vccnz .LBB0_8
; %bb.1:
	s_load_dwordx2 s[2:3], s[0:1], 0x10
	s_add_u32 s16, s14, 8
	s_addc_u32 s17, s15, 0
	s_add_u32 s18, s12, 8
	s_addc_u32 s19, s13, 0
	s_waitcnt lgkmcnt(0)
	s_add_u32 s20, s2, 8
	v_mov_b64_e32 v[4:5], 0
	s_addc_u32 s21, s3, 0
	s_mov_b64 s[22:23], 1
	v_mov_b64_e32 v[40:41], v[4:5]
	v_mov_b64_e32 v[6:7], v[46:47]
.LBB0_2:                                ; =>This Inner Loop Header: Depth=1
	s_load_dwordx2 s[24:25], s[20:21], 0x0
                                        ; implicit-def: $vgpr44_vgpr45
	s_waitcnt lgkmcnt(0)
	v_or_b32_e32 v3, s25, v7
	v_cmp_ne_u64_e32 vcc, 0, v[2:3]
	s_and_saveexec_b64 s[2:3], vcc
	s_xor_b64 s[26:27], exec, s[2:3]
	s_cbranch_execz .LBB0_4
; %bb.3:                                ;   in Loop: Header=BB0_2 Depth=1
	v_cvt_f32_u32_e32 v1, s24
	v_cvt_f32_u32_e32 v3, s25
	s_sub_u32 s2, 0, s24
	s_subb_u32 s3, 0, s25
	v_fmac_f32_e32 v1, 0x4f800000, v3
	v_rcp_f32_e32 v1, v1
	s_nop 0
	v_mul_f32_e32 v1, 0x5f7ffffc, v1
	v_mul_f32_e32 v3, 0x2f800000, v1
	v_trunc_f32_e32 v3, v3
	v_fmac_f32_e32 v1, 0xcf800000, v3
	v_cvt_u32_f32_e32 v3, v3
	v_cvt_u32_f32_e32 v1, v1
	v_mul_lo_u32 v8, s2, v3
	v_mul_hi_u32 v10, s2, v1
	v_mul_lo_u32 v9, s3, v1
	v_add_u32_e32 v10, v10, v8
	v_mul_lo_u32 v12, s2, v1
	v_add_u32_e32 v13, v10, v9
	v_mul_hi_u32 v8, v1, v12
	v_mul_hi_u32 v11, v1, v13
	v_mul_lo_u32 v10, v1, v13
	v_mov_b32_e32 v9, v2
	v_lshl_add_u64 v[8:9], v[8:9], 0, v[10:11]
	v_mul_hi_u32 v11, v3, v12
	v_mul_lo_u32 v12, v3, v12
	v_add_co_u32_e32 v8, vcc, v8, v12
	v_mul_hi_u32 v10, v3, v13
	s_nop 0
	v_addc_co_u32_e32 v8, vcc, v9, v11, vcc
	v_mov_b32_e32 v9, v2
	s_nop 0
	v_addc_co_u32_e32 v11, vcc, 0, v10, vcc
	v_mul_lo_u32 v10, v3, v13
	v_lshl_add_u64 v[8:9], v[8:9], 0, v[10:11]
	v_add_co_u32_e32 v1, vcc, v1, v8
	v_mul_lo_u32 v10, s2, v1
	s_nop 0
	v_addc_co_u32_e32 v3, vcc, v3, v9, vcc
	v_mul_lo_u32 v8, s2, v3
	v_mul_hi_u32 v9, s2, v1
	v_add_u32_e32 v8, v9, v8
	v_mul_lo_u32 v9, s3, v1
	v_add_u32_e32 v12, v8, v9
	v_mul_hi_u32 v14, v3, v10
	v_mul_lo_u32 v15, v3, v10
	v_mul_hi_u32 v9, v1, v12
	v_mul_lo_u32 v8, v1, v12
	v_mul_hi_u32 v10, v1, v10
	v_mov_b32_e32 v11, v2
	v_lshl_add_u64 v[8:9], v[10:11], 0, v[8:9]
	v_add_co_u32_e32 v8, vcc, v8, v15
	v_mul_hi_u32 v13, v3, v12
	s_nop 0
	v_addc_co_u32_e32 v8, vcc, v9, v14, vcc
	v_mul_lo_u32 v10, v3, v12
	s_nop 0
	v_addc_co_u32_e32 v11, vcc, 0, v13, vcc
	v_mov_b32_e32 v9, v2
	v_lshl_add_u64 v[8:9], v[8:9], 0, v[10:11]
	v_add_co_u32_e32 v1, vcc, v1, v8
	v_mul_hi_u32 v10, v6, v1
	s_nop 0
	v_addc_co_u32_e32 v3, vcc, v3, v9, vcc
	v_mad_u64_u32 v[8:9], s[2:3], v6, v3, 0
	v_mov_b32_e32 v11, v2
	v_lshl_add_u64 v[8:9], v[10:11], 0, v[8:9]
	v_mad_u64_u32 v[12:13], s[2:3], v7, v1, 0
	v_add_co_u32_e32 v1, vcc, v8, v12
	v_mad_u64_u32 v[10:11], s[2:3], v7, v3, 0
	s_nop 0
	v_addc_co_u32_e32 v8, vcc, v9, v13, vcc
	v_mov_b32_e32 v9, v2
	s_nop 0
	v_addc_co_u32_e32 v11, vcc, 0, v11, vcc
	v_lshl_add_u64 v[8:9], v[8:9], 0, v[10:11]
	v_mul_lo_u32 v1, s25, v8
	v_mul_lo_u32 v3, s24, v9
	v_mad_u64_u32 v[10:11], s[2:3], s24, v8, 0
	v_add3_u32 v1, v11, v3, v1
	v_sub_u32_e32 v3, v7, v1
	v_mov_b32_e32 v11, s25
	v_sub_co_u32_e32 v14, vcc, v6, v10
	v_lshl_add_u64 v[12:13], v[8:9], 0, 1
	s_nop 0
	v_subb_co_u32_e64 v3, s[2:3], v3, v11, vcc
	v_subrev_co_u32_e64 v10, s[2:3], s24, v14
	v_subb_co_u32_e32 v1, vcc, v7, v1, vcc
	s_nop 0
	v_subbrev_co_u32_e64 v3, s[2:3], 0, v3, s[2:3]
	v_cmp_le_u32_e64 s[2:3], s25, v3
	v_cmp_le_u32_e32 vcc, s25, v1
	s_nop 0
	v_cndmask_b32_e64 v11, 0, -1, s[2:3]
	v_cmp_le_u32_e64 s[2:3], s24, v10
	s_nop 1
	v_cndmask_b32_e64 v10, 0, -1, s[2:3]
	v_cmp_eq_u32_e64 s[2:3], s25, v3
	s_nop 1
	v_cndmask_b32_e64 v3, v11, v10, s[2:3]
	v_lshl_add_u64 v[10:11], v[8:9], 0, 2
	v_cmp_ne_u32_e64 s[2:3], 0, v3
	s_nop 1
	v_cndmask_b32_e64 v3, v13, v11, s[2:3]
	v_cndmask_b32_e64 v11, 0, -1, vcc
	v_cmp_le_u32_e32 vcc, s24, v14
	s_nop 1
	v_cndmask_b32_e64 v13, 0, -1, vcc
	v_cmp_eq_u32_e32 vcc, s25, v1
	s_nop 1
	v_cndmask_b32_e32 v1, v11, v13, vcc
	v_cmp_ne_u32_e32 vcc, 0, v1
	v_cndmask_b32_e64 v1, v12, v10, s[2:3]
	s_nop 0
	v_cndmask_b32_e32 v45, v9, v3, vcc
	v_cndmask_b32_e32 v44, v8, v1, vcc
.LBB0_4:                                ;   in Loop: Header=BB0_2 Depth=1
	s_andn2_saveexec_b64 s[2:3], s[26:27]
	s_cbranch_execz .LBB0_6
; %bb.5:                                ;   in Loop: Header=BB0_2 Depth=1
	v_cvt_f32_u32_e32 v1, s24
	s_sub_i32 s26, 0, s24
	v_mov_b32_e32 v45, v2
	v_rcp_iflag_f32_e32 v1, v1
	s_nop 0
	v_mul_f32_e32 v1, 0x4f7ffffe, v1
	v_cvt_u32_f32_e32 v1, v1
	v_mul_lo_u32 v3, s26, v1
	v_mul_hi_u32 v3, v1, v3
	v_add_u32_e32 v1, v1, v3
	v_mul_hi_u32 v1, v6, v1
	v_mul_lo_u32 v3, v1, s24
	v_sub_u32_e32 v3, v6, v3
	v_add_u32_e32 v8, 1, v1
	v_subrev_u32_e32 v9, s24, v3
	v_cmp_le_u32_e32 vcc, s24, v3
	s_nop 1
	v_cndmask_b32_e32 v3, v3, v9, vcc
	v_cndmask_b32_e32 v1, v1, v8, vcc
	v_add_u32_e32 v8, 1, v1
	v_cmp_le_u32_e32 vcc, s24, v3
	s_nop 1
	v_cndmask_b32_e32 v44, v1, v8, vcc
.LBB0_6:                                ;   in Loop: Header=BB0_2 Depth=1
	s_or_b64 exec, exec, s[2:3]
	v_mad_u64_u32 v[8:9], s[2:3], v44, s24, 0
	s_load_dwordx2 s[2:3], s[18:19], 0x0
	v_mul_lo_u32 v1, v45, s24
	v_mul_lo_u32 v3, v44, s25
	s_load_dwordx2 s[24:25], s[16:17], 0x0
	s_add_u32 s22, s22, 1
	v_add3_u32 v1, v9, v3, v1
	v_sub_co_u32_e32 v3, vcc, v6, v8
	s_addc_u32 s23, s23, 0
	s_nop 0
	v_subb_co_u32_e32 v1, vcc, v7, v1, vcc
	s_add_u32 s16, s16, 8
	s_waitcnt lgkmcnt(0)
	v_mul_lo_u32 v6, s2, v1
	v_mul_lo_u32 v7, s3, v3
	v_mad_u64_u32 v[4:5], s[2:3], s2, v3, v[4:5]
	s_addc_u32 s17, s17, 0
	v_add3_u32 v5, v7, v5, v6
	v_mul_lo_u32 v1, s24, v1
	v_mul_lo_u32 v6, s25, v3
	v_mad_u64_u32 v[40:41], s[2:3], s24, v3, v[40:41]
	s_add_u32 s18, s18, 8
	v_add3_u32 v41, v6, v41, v1
	s_addc_u32 s19, s19, 0
	v_mov_b64_e32 v[6:7], s[10:11]
	s_add_u32 s20, s20, 8
	v_cmp_ge_u64_e32 vcc, s[22:23], v[6:7]
	s_addc_u32 s21, s21, 0
	s_cbranch_vccnz .LBB0_8
; %bb.7:                                ;   in Loop: Header=BB0_2 Depth=1
	v_mov_b64_e32 v[6:7], v[44:45]
	s_branch .LBB0_2
.LBB0_8:
	s_load_dwordx2 s[0:1], s[0:1], 0x28
	s_lshl_b64 s[2:3], s[10:11], 3
	s_add_u32 s16, s14, s2
	s_addc_u32 s17, s15, s3
                                        ; implicit-def: $vgpr42
	s_waitcnt lgkmcnt(0)
	v_cmp_gt_u64_e32 vcc, s[0:1], v[44:45]
	v_cmp_le_u64_e64 s[0:1], s[0:1], v[44:45]
	s_and_saveexec_b64 s[10:11], s[0:1]
	s_xor_b64 s[0:1], exec, s[10:11]
; %bb.9:
	s_mov_b32 s10, 0xccccccd
	v_mul_hi_u32 v1, v0, s10
	v_mul_u32_u24_e32 v1, 20, v1
	v_sub_u32_e32 v42, v0, v1
                                        ; implicit-def: $vgpr0
                                        ; implicit-def: $vgpr4_vgpr5
; %bb.10:
	s_or_saveexec_b64 s[0:1], s[0:1]
                                        ; implicit-def: $vgpr22_vgpr23
                                        ; implicit-def: $vgpr38_vgpr39
                                        ; implicit-def: $vgpr14_vgpr15
                                        ; implicit-def: $vgpr30_vgpr31
                                        ; implicit-def: $vgpr18_vgpr19
                                        ; implicit-def: $vgpr34_vgpr35
                                        ; implicit-def: $vgpr10_vgpr11
                                        ; implicit-def: $vgpr26_vgpr27
                                        ; implicit-def: $vgpr6_vgpr7
                                        ; implicit-def: $vgpr2_vgpr3
	s_xor_b64 exec, exec, s[0:1]
	s_cbranch_execz .LBB0_12
; %bb.11:
	s_add_u32 s2, s12, s2
	s_addc_u32 s3, s13, s3
	s_load_dwordx2 s[2:3], s[2:3], 0x0
	s_mov_b32 s10, 0xccccccd
	s_waitcnt lgkmcnt(0)
	v_mul_lo_u32 v1, s3, v44
	v_mul_lo_u32 v6, s2, v45
	v_mad_u64_u32 v[2:3], s[2:3], s2, v44, 0
	v_add3_u32 v3, v3, v6, v1
	v_mul_hi_u32 v1, v0, s10
	v_mul_u32_u24_e32 v1, 20, v1
	v_sub_u32_e32 v42, v0, v1
	v_lshl_add_u64 v[0:1], v[2:3], 4, s[4:5]
	v_lshl_add_u64 v[0:1], v[4:5], 4, v[0:1]
	v_lshlrev_b32_e32 v2, 4, v42
	v_mov_b32_e32 v3, 0
	v_lshl_add_u64 v[48:49], v[0:1], 0, v[2:3]
	global_load_dwordx4 v[0:3], v[48:49], off
	global_load_dwordx4 v[4:7], v[48:49], off offset:320
	global_load_dwordx4 v[24:27], v[48:49], off offset:640
	;; [unrolled: 1-line block ×9, first 2 shown]
.LBB0_12:
	s_or_b64 exec, exec, s[0:1]
	s_mov_b32 s0, 0xaaaaaaab
	v_mul_hi_u32 v43, v46, s0
	v_lshrrev_b32_e32 v43, 1, v43
	v_lshl_add_u32 v43, v43, 1, v43
	v_sub_u32_e32 v43, v46, v43
	s_waitcnt vmcnt(3)
	v_add_f64 v[46:47], v[28:29], v[32:33]
	s_mov_b32 s14, 0x134454ff
	v_fma_f64 v[46:47], -0.5, v[46:47], v[0:1]
	s_waitcnt vmcnt(1)
	v_add_f64 v[50:51], v[26:27], -v[38:39]
	s_mov_b32 s15, 0xbfee6f0e
	s_mov_b32 s10, 0x4755a5e
	;; [unrolled: 1-line block ×4, first 2 shown]
	v_fma_f64 v[48:49], s[14:15], v[50:51], v[46:47]
	v_add_f64 v[56:57], v[34:35], -v[30:31]
	s_mov_b32 s11, 0xbfe2cf23
	v_add_f64 v[52:53], v[24:25], -v[32:33]
	v_add_f64 v[58:59], v[36:37], -v[28:29]
	s_mov_b32 s12, 0x372fe950
	v_fmac_f64_e32 v[46:47], s[4:5], v[50:51]
	s_mov_b32 s3, 0x3fe2cf23
	s_mov_b32 s2, s10
	v_fmac_f64_e32 v[48:49], s[10:11], v[56:57]
	v_add_f64 v[52:53], v[58:59], v[52:53]
	s_mov_b32 s13, 0x3fd3c6ef
	v_fmac_f64_e32 v[46:47], s[2:3], v[56:57]
	v_fmac_f64_e32 v[48:49], s[12:13], v[52:53]
	;; [unrolled: 1-line block ×3, first 2 shown]
	v_add_f64 v[52:53], v[36:37], v[24:25]
	v_add_f64 v[54:55], v[24:25], v[0:1]
	v_fmac_f64_e32 v[0:1], -0.5, v[52:53]
	v_add_f64 v[58:59], v[32:33], -v[24:25]
	v_add_f64 v[60:61], v[28:29], -v[36:37]
	v_fma_f64 v[52:53], s[4:5], v[56:57], v[0:1]
	v_add_f64 v[58:59], v[60:61], v[58:59]
	v_fmac_f64_e32 v[0:1], s[14:15], v[56:57]
	v_add_f64 v[60:61], v[32:33], -v[28:29]
	v_add_f64 v[32:33], v[32:33], v[54:55]
	v_add_f64 v[54:55], v[26:27], v[2:3]
	v_fmac_f64_e32 v[52:53], s[10:11], v[50:51]
	v_fmac_f64_e32 v[0:1], s[2:3], v[50:51]
	v_add_f64 v[50:51], v[30:31], v[34:35]
	v_add_f64 v[56:57], v[24:25], -v[36:37]
	v_add_f64 v[24:25], v[26:27], -v[34:35]
	v_add_f64 v[54:55], v[34:35], v[54:55]
	v_add_f64 v[34:35], v[34:35], -v[26:27]
	v_add_f64 v[26:27], v[38:39], v[26:27]
	v_fma_f64 v[50:51], -0.5, v[50:51], v[2:3]
	v_add_f64 v[28:29], v[28:29], v[32:33]
	v_fmac_f64_e32 v[2:3], -0.5, v[26:27]
	v_fmac_f64_e32 v[52:53], s[12:13], v[58:59]
	v_fmac_f64_e32 v[0:1], s[12:13], v[58:59]
	v_add_f64 v[58:59], v[38:39], -v[30:31]
	v_add_f64 v[32:33], v[36:37], v[28:29]
	v_add_f64 v[28:29], v[30:31], v[54:55]
	v_fma_f64 v[26:27], s[14:15], v[60:61], v[2:3]
	v_add_f64 v[30:31], v[30:31], -v[38:39]
	v_fmac_f64_e32 v[2:3], s[4:5], v[60:61]
	v_fmac_f64_e32 v[26:27], s[2:3], v[56:57]
	v_add_f64 v[30:31], v[30:31], v[34:35]
	v_fmac_f64_e32 v[2:3], s[10:11], v[56:57]
	v_add_f64 v[58:59], v[58:59], v[24:25]
	v_fma_f64 v[24:25], s[4:5], v[56:57], v[50:51]
	v_fmac_f64_e32 v[50:51], s[14:15], v[56:57]
	v_fmac_f64_e32 v[26:27], s[12:13], v[30:31]
	;; [unrolled: 1-line block ×3, first 2 shown]
	v_add_f64 v[30:31], v[12:13], v[16:17]
	v_fmac_f64_e32 v[24:25], s[2:3], v[60:61]
	v_fmac_f64_e32 v[50:51], s[10:11], v[60:61]
	v_add_f64 v[28:29], v[38:39], v[28:29]
	v_fma_f64 v[30:31], -0.5, v[30:31], v[4:5]
	s_waitcnt vmcnt(0)
	v_add_f64 v[38:39], v[10:11], -v[22:23]
	v_fmac_f64_e32 v[24:25], s[12:13], v[58:59]
	v_fmac_f64_e32 v[50:51], s[12:13], v[58:59]
	v_fma_f64 v[36:37], s[14:15], v[38:39], v[30:31]
	v_add_f64 v[56:57], v[18:19], -v[14:15]
	v_add_f64 v[34:35], v[8:9], -v[16:17]
	v_add_f64 v[58:59], v[20:21], -v[12:13]
	v_fmac_f64_e32 v[30:31], s[4:5], v[38:39]
	v_fmac_f64_e32 v[36:37], s[10:11], v[56:57]
	v_add_f64 v[34:35], v[58:59], v[34:35]
	v_fmac_f64_e32 v[30:31], s[2:3], v[56:57]
	v_fmac_f64_e32 v[36:37], s[12:13], v[34:35]
	;; [unrolled: 1-line block ×3, first 2 shown]
	v_add_f64 v[34:35], v[20:21], v[8:9]
	v_add_f64 v[54:55], v[8:9], v[4:5]
	v_fmac_f64_e32 v[4:5], -0.5, v[34:35]
	v_fma_f64 v[34:35], s[4:5], v[56:57], v[4:5]
	v_add_f64 v[58:59], v[16:17], -v[8:9]
	v_add_f64 v[60:61], v[12:13], -v[20:21]
	v_fmac_f64_e32 v[4:5], s[14:15], v[56:57]
	v_fmac_f64_e32 v[34:35], s[10:11], v[38:39]
	v_add_f64 v[58:59], v[60:61], v[58:59]
	v_fmac_f64_e32 v[4:5], s[2:3], v[38:39]
	v_add_f64 v[38:39], v[14:15], v[18:19]
	v_fmac_f64_e32 v[34:35], s[12:13], v[58:59]
	v_fmac_f64_e32 v[4:5], s[12:13], v[58:59]
	v_fma_f64 v[38:39], -0.5, v[38:39], v[6:7]
	v_add_f64 v[8:9], v[8:9], -v[20:21]
	v_add_f64 v[56:57], v[10:11], -v[18:19]
	;; [unrolled: 1-line block ×4, first 2 shown]
	v_add_f64 v[16:17], v[16:17], v[54:55]
	v_add_f64 v[54:55], v[10:11], v[6:7]
	;; [unrolled: 1-line block ×3, first 2 shown]
	v_fma_f64 v[58:59], s[4:5], v[8:9], v[38:39]
	v_add_f64 v[54:55], v[18:19], v[54:55]
	v_add_f64 v[18:19], v[18:19], -v[10:11]
	v_add_f64 v[10:11], v[22:23], v[10:11]
	v_fmac_f64_e32 v[58:59], s[2:3], v[60:61]
	v_fmac_f64_e32 v[38:39], s[14:15], v[8:9]
	v_fmac_f64_e32 v[6:7], -0.5, v[10:11]
	v_fmac_f64_e32 v[58:59], s[12:13], v[56:57]
	v_fmac_f64_e32 v[38:39], s[10:11], v[60:61]
	v_add_f64 v[12:13], v[12:13], v[16:17]
	v_fma_f64 v[16:17], s[14:15], v[60:61], v[6:7]
	v_add_f64 v[10:11], v[14:15], -v[22:23]
	v_fmac_f64_e32 v[6:7], s[4:5], v[60:61]
	s_mov_b32 s20, 0x9b97f4a8
	v_fmac_f64_e32 v[38:39], s[12:13], v[56:57]
	v_add_f64 v[10:11], v[10:11], v[18:19]
	v_fmac_f64_e32 v[6:7], s[10:11], v[8:9]
	v_mul_f64 v[56:57], v[58:59], s[10:11]
	s_mov_b32 s21, 0x3fe9e377
	v_fmac_f64_e32 v[16:17], s[2:3], v[8:9]
	v_fmac_f64_e32 v[6:7], s[12:13], v[10:11]
	;; [unrolled: 1-line block ×3, first 2 shown]
	v_mul_f64 v[36:37], v[36:37], s[2:3]
	v_mul_u32_u24_e32 v43, 0xc8, v43
	v_fmac_f64_e32 v[16:17], s[12:13], v[10:11]
	v_mul_f64 v[62:63], v[6:7], s[14:15]
	s_mov_b32 s23, 0xbfd3c6ef
	s_mov_b32 s22, s12
	v_mul_f64 v[64:65], v[38:39], s[10:11]
	s_mov_b32 s19, 0xbfe9e377
	s_mov_b32 s18, s20
	v_fmac_f64_e32 v[36:37], s[20:21], v[58:59]
	v_mul_f64 v[60:61], v[16:17], s[14:15]
	v_fmac_f64_e32 v[62:63], s[22:23], v[4:5]
	v_fmac_f64_e32 v[64:65], s[18:19], v[30:31]
	v_mul_f64 v[58:59], v[6:7], s[22:23]
	v_mul_f64 v[38:39], v[38:39], s[18:19]
	v_add_f64 v[18:19], v[24:25], v[36:37]
	v_add_f64 v[24:25], v[24:25], -v[36:37]
	v_lshlrev_b32_e32 v36, 3, v43
	v_add_f64 v[20:21], v[20:21], v[12:13]
	v_add_f64 v[12:13], v[14:15], v[54:55]
	v_add_f64 v[10:11], v[48:49], v[56:57]
	v_fmac_f64_e32 v[60:61], s[12:13], v[34:35]
	v_add_f64 v[14:15], v[0:1], v[62:63]
	v_fmac_f64_e32 v[58:59], s[4:5], v[4:5]
	v_add_f64 v[4:5], v[46:47], v[64:65]
	v_mul_f64 v[34:35], v[34:35], s[4:5]
	v_fmac_f64_e32 v[38:39], s[2:3], v[30:31]
	v_add_f64 v[30:31], v[48:49], -v[56:57]
	v_add_f64 v[48:49], v[46:47], -v[64:65]
	;; [unrolled: 1-line block ×3, first 2 shown]
	v_mul_u32_u24_e32 v0, 10, v42
	v_add_u32_e32 v1, 0, v36
	v_add_f64 v[54:55], v[22:23], v[12:13]
	v_fmac_f64_e32 v[34:35], s[12:13], v[16:17]
	v_add_f64 v[22:23], v[2:3], v[58:59]
	v_add_f64 v[56:57], v[2:3], -v[58:59]
	v_lshl_add_u32 v2, v0, 3, v1
	s_movk_i32 s0, 0xffb8
	v_add_f64 v[8:9], v[20:21], v[32:33]
	v_add_f64 v[12:13], v[52:53], v[60:61]
	;; [unrolled: 1-line block ×3, first 2 shown]
	v_add_f64 v[6:7], v[32:33], -v[20:21]
	v_add_f64 v[20:21], v[26:27], v[34:35]
	v_add_f64 v[26:27], v[26:27], -v[34:35]
	v_mad_i32_i24 v35, v42, s0, v2
	s_load_dwordx2 s[16:17], s[16:17], 0x0
	v_add_f64 v[32:33], v[52:53], -v[60:61]
	v_add_f64 v[52:53], v[50:51], v[38:39]
	v_add_f64 v[54:55], v[28:29], -v[54:55]
	v_add_f64 v[58:59], v[50:51], -v[38:39]
	ds_write_b128 v2, v[8:11]
	ds_write_b128 v2, v[12:15] offset:16
	ds_write_b128 v2, v[4:7] offset:32
	;; [unrolled: 1-line block ×4, first 2 shown]
	s_waitcnt lgkmcnt(0)
	; wave barrier
	s_waitcnt lgkmcnt(0)
	v_lshl_add_u32 v34, v42, 3, v1
	ds_read2_b64 v[4:7], v35 offset0:20 offset1:40
	ds_read2_b64 v[8:11], v35 offset0:60 offset1:80
	;; [unrolled: 1-line block ×4, first 2 shown]
	ds_read_b64 v[0:1], v34
	ds_read_b64 v[12:13], v35 offset:1440
	s_waitcnt lgkmcnt(0)
	; wave barrier
	s_waitcnt lgkmcnt(0)
	ds_write_b128 v2, v[16:19]
	ds_write_b128 v2, v[20:23] offset:16
	ds_write_b128 v2, v[52:55] offset:32
	;; [unrolled: 1-line block ×4, first 2 shown]
	v_add_u32_e32 v2, -10, v42
	v_cmp_gt_u32_e64 s[0:1], 10, v42
	v_mov_b32_e32 v17, 0
	s_waitcnt lgkmcnt(0)
	v_cndmask_b32_e64 v37, v2, v42, s[0:1]
	v_mul_i32_i24_e32 v16, 9, v37
	v_lshl_add_u64 v[2:3], v[16:17], 4, s[8:9]
	; wave barrier
	global_load_dwordx4 v[18:21], v[2:3], off
	global_load_dwordx4 v[22:25], v[2:3], off offset:16
	global_load_dwordx4 v[50:53], v[2:3], off offset:32
	;; [unrolled: 1-line block ×8, first 2 shown]
	ds_read2_b64 v[78:81], v35 offset0:20 offset1:40
	v_cmp_lt_u32_e64 s[0:1], 9, v42
	s_movk_i32 s24, 0xc8
	s_waitcnt vmcnt(8) lgkmcnt(0)
	v_mul_f64 v[2:3], v[78:79], v[20:21]
	v_fmac_f64_e32 v[2:3], v[4:5], v[18:19]
	v_mul_f64 v[4:5], v[4:5], v[20:21]
	v_fma_f64 v[4:5], v[78:79], v[18:19], -v[4:5]
	ds_read2_b64 v[18:21], v35 offset0:60 offset1:80
	s_waitcnt vmcnt(7)
	v_mul_f64 v[38:39], v[80:81], v[24:25]
	v_fmac_f64_e32 v[38:39], v[6:7], v[22:23]
	v_mul_f64 v[6:7], v[6:7], v[24:25]
	ds_read2_b64 v[24:27], v35 offset0:100 offset1:120
	s_waitcnt vmcnt(6) lgkmcnt(1)
	v_mul_f64 v[14:15], v[18:19], v[52:53]
	v_fma_f64 v[78:79], v[80:81], v[22:23], -v[6:7]
	v_fmac_f64_e32 v[14:15], v[8:9], v[50:51]
	v_mul_f64 v[6:7], v[8:9], v[52:53]
	s_waitcnt vmcnt(5)
	v_mul_f64 v[8:9], v[10:11], v[56:57]
	v_fma_f64 v[6:7], v[18:19], v[50:51], -v[6:7]
	v_mul_f64 v[50:51], v[20:21], v[56:57]
	v_fma_f64 v[52:53], v[20:21], v[54:55], -v[8:9]
	ds_read2_b64 v[18:21], v35 offset0:140 offset1:160
	s_waitcnt vmcnt(4)
	v_mul_f64 v[8:9], v[28:29], v[60:61]
	v_fmac_f64_e32 v[50:51], v[10:11], v[54:55]
	s_waitcnt lgkmcnt(1)
	v_mul_f64 v[22:23], v[24:25], v[60:61]
	v_fma_f64 v[10:11], v[24:25], v[58:59], -v[8:9]
	ds_read_b64 v[24:25], v35 offset:1440
	s_waitcnt vmcnt(3)
	v_mul_f64 v[8:9], v[30:31], v[64:65]
	v_fma_f64 v[56:57], v[26:27], v[62:63], -v[8:9]
	s_waitcnt vmcnt(2) lgkmcnt(1)
	v_mul_f64 v[32:33], v[18:19], v[68:69]
	v_mul_f64 v[8:9], v[46:47], v[68:69]
	v_fmac_f64_e32 v[32:33], v[46:47], v[66:67]
	v_fma_f64 v[18:19], v[18:19], v[66:67], -v[8:9]
	s_waitcnt vmcnt(1)
	v_mul_f64 v[46:47], v[20:21], v[72:73]
	v_mul_f64 v[8:9], v[48:49], v[72:73]
	v_fmac_f64_e32 v[22:23], v[28:29], v[58:59]
	v_mul_f64 v[54:55], v[26:27], v[64:65]
	v_fmac_f64_e32 v[46:47], v[48:49], v[70:71]
	v_fma_f64 v[48:49], v[20:21], v[70:71], -v[8:9]
	ds_read_b64 v[8:9], v34
	s_waitcnt vmcnt(0) lgkmcnt(1)
	v_mul_f64 v[58:59], v[24:25], v[76:77]
	v_fmac_f64_e32 v[54:55], v[30:31], v[62:63]
	v_fmac_f64_e32 v[58:59], v[12:13], v[74:75]
	v_mul_f64 v[12:13], v[12:13], v[76:77]
	v_fma_f64 v[60:61], v[24:25], v[74:75], -v[12:13]
	v_add_f64 v[12:13], v[50:51], v[54:55]
	v_fma_f64 v[12:13], -0.5, v[12:13], v[0:1]
	v_add_f64 v[28:29], v[78:79], -v[48:49]
	v_fma_f64 v[20:21], s[14:15], v[28:29], v[12:13]
	v_add_f64 v[30:31], v[52:53], -v[56:57]
	v_add_f64 v[24:25], v[38:39], -v[50:51]
	;; [unrolled: 1-line block ×3, first 2 shown]
	v_fmac_f64_e32 v[12:13], s[4:5], v[28:29]
	v_add_f64 v[26:27], v[0:1], v[38:39]
	v_fmac_f64_e32 v[20:21], s[10:11], v[30:31]
	v_add_f64 v[24:25], v[24:25], v[62:63]
	v_fmac_f64_e32 v[12:13], s[2:3], v[30:31]
	v_fmac_f64_e32 v[20:21], s[12:13], v[24:25]
	;; [unrolled: 1-line block ×3, first 2 shown]
	v_add_f64 v[24:25], v[38:39], v[46:47]
	v_add_f64 v[26:27], v[26:27], v[50:51]
	v_fmac_f64_e32 v[0:1], -0.5, v[24:25]
	v_add_f64 v[24:25], v[50:51], -v[38:39]
	v_add_f64 v[62:63], v[54:55], -v[46:47]
	v_add_f64 v[26:27], v[26:27], v[54:55]
	v_add_f64 v[62:63], v[24:25], v[62:63]
	v_fma_f64 v[24:25], s[4:5], v[30:31], v[0:1]
	v_fmac_f64_e32 v[0:1], s[14:15], v[30:31]
	v_add_f64 v[30:31], v[26:27], v[46:47]
	s_waitcnt lgkmcnt(0)
	v_add_f64 v[26:27], v[8:9], v[78:79]
	v_add_f64 v[26:27], v[26:27], v[52:53]
	;; [unrolled: 1-line block ×3, first 2 shown]
	v_fmac_f64_e32 v[24:25], s[10:11], v[28:29]
	v_fmac_f64_e32 v[0:1], s[2:3], v[28:29]
	v_add_f64 v[28:29], v[26:27], v[48:49]
	v_add_f64 v[26:27], v[52:53], v[56:57]
	v_fma_f64 v[26:27], -0.5, v[26:27], v[8:9]
	v_add_f64 v[38:39], v[38:39], -v[46:47]
	v_add_f64 v[46:47], v[50:51], -v[54:55]
	;; [unrolled: 1-line block ×4, first 2 shown]
	v_add_f64 v[50:51], v[50:51], v[54:55]
	v_fma_f64 v[54:55], s[4:5], v[38:39], v[26:27]
	v_fmac_f64_e32 v[26:27], s[14:15], v[38:39]
	v_fmac_f64_e32 v[54:55], s[2:3], v[46:47]
	;; [unrolled: 1-line block ×5, first 2 shown]
	v_add_f64 v[50:51], v[78:79], v[48:49]
	v_fmac_f64_e32 v[8:9], -0.5, v[50:51]
	v_fma_f64 v[50:51], s[14:15], v[46:47], v[8:9]
	v_add_f64 v[52:53], v[52:53], -v[78:79]
	v_add_f64 v[48:49], v[56:57], -v[48:49]
	v_fmac_f64_e32 v[8:9], s[4:5], v[46:47]
	v_fmac_f64_e32 v[50:51], s[2:3], v[38:39]
	v_add_f64 v[48:49], v[52:53], v[48:49]
	v_fmac_f64_e32 v[8:9], s[10:11], v[38:39]
	v_add_f64 v[46:47], v[22:23], v[32:33]
	v_fmac_f64_e32 v[24:25], s[12:13], v[62:63]
	v_fmac_f64_e32 v[0:1], s[12:13], v[62:63]
	;; [unrolled: 1-line block ×4, first 2 shown]
	v_fma_f64 v[46:47], -0.5, v[46:47], v[2:3]
	v_add_f64 v[48:49], v[6:7], -v[60:61]
	v_add_f64 v[56:57], v[14:15], -v[22:23]
	;; [unrolled: 1-line block ×3, first 2 shown]
	v_fma_f64 v[52:53], s[14:15], v[48:49], v[46:47]
	v_add_f64 v[56:57], v[56:57], v[62:63]
	v_add_f64 v[62:63], v[10:11], -v[18:19]
	v_fmac_f64_e32 v[46:47], s[4:5], v[48:49]
	v_fmac_f64_e32 v[52:53], s[10:11], v[62:63]
	;; [unrolled: 1-line block ×5, first 2 shown]
	v_add_f64 v[56:57], v[14:15], v[58:59]
	v_add_f64 v[38:39], v[2:3], v[14:15]
	v_fmac_f64_e32 v[2:3], -0.5, v[56:57]
	v_add_f64 v[56:57], v[22:23], -v[14:15]
	v_add_f64 v[64:65], v[32:33], -v[58:59]
	v_add_f64 v[56:57], v[56:57], v[64:65]
	v_fma_f64 v[64:65], s[4:5], v[62:63], v[2:3]
	v_fmac_f64_e32 v[2:3], s[14:15], v[62:63]
	v_add_f64 v[38:39], v[38:39], v[22:23]
	v_fmac_f64_e32 v[64:65], s[10:11], v[48:49]
	v_fmac_f64_e32 v[2:3], s[2:3], v[48:49]
	v_add_f64 v[38:39], v[38:39], v[32:33]
	v_fmac_f64_e32 v[64:65], s[12:13], v[56:57]
	v_fmac_f64_e32 v[2:3], s[12:13], v[56:57]
	v_add_f64 v[56:57], v[10:11], v[18:19]
	v_add_f64 v[38:39], v[38:39], v[58:59]
	v_fma_f64 v[56:57], -0.5, v[56:57], v[4:5]
	v_add_f64 v[14:15], v[14:15], -v[58:59]
	v_add_f64 v[22:23], v[22:23], -v[32:33]
	;; [unrolled: 1-line block ×4, first 2 shown]
	v_add_f64 v[32:33], v[32:33], v[58:59]
	v_fma_f64 v[58:59], s[4:5], v[14:15], v[56:57]
	v_fmac_f64_e32 v[56:57], s[14:15], v[14:15]
	v_fmac_f64_e32 v[58:59], s[2:3], v[22:23]
	;; [unrolled: 1-line block ×5, first 2 shown]
	v_add_f64 v[32:33], v[6:7], v[60:61]
	v_add_f64 v[48:49], v[4:5], v[6:7]
	v_fmac_f64_e32 v[4:5], -0.5, v[32:33]
	v_add_f64 v[48:49], v[48:49], v[10:11]
	v_fma_f64 v[32:33], s[14:15], v[22:23], v[4:5]
	v_add_f64 v[6:7], v[10:11], -v[6:7]
	v_add_f64 v[10:11], v[18:19], -v[60:61]
	v_fmac_f64_e32 v[4:5], s[4:5], v[22:23]
	v_fmac_f64_e32 v[32:33], s[2:3], v[14:15]
	v_add_f64 v[6:7], v[6:7], v[10:11]
	v_fmac_f64_e32 v[4:5], s[10:11], v[14:15]
	v_add_f64 v[48:49], v[48:49], v[18:19]
	v_fmac_f64_e32 v[32:33], s[12:13], v[6:7]
	v_fmac_f64_e32 v[4:5], s[12:13], v[6:7]
	v_add_f64 v[48:49], v[48:49], v[60:61]
	v_mul_f64 v[18:19], v[32:33], s[14:15]
	v_mul_f64 v[60:61], v[4:5], s[14:15]
	;; [unrolled: 1-line block ×4, first 2 shown]
	v_fmac_f64_e32 v[18:19], s[12:13], v[64:65]
	v_fmac_f64_e32 v[32:33], s[4:5], v[64:65]
	v_fmac_f64_e32 v[4:5], s[4:5], v[2:3]
	v_add_f64 v[22:23], v[24:25], v[18:19]
	v_add_f64 v[64:65], v[50:51], v[32:33]
	v_add_f64 v[18:19], v[24:25], -v[18:19]
	v_add_f64 v[24:25], v[8:9], v[4:5]
	v_add_f64 v[32:33], v[50:51], -v[32:33]
	v_add_f64 v[50:51], v[8:9], -v[4:5]
	v_mov_b32_e32 v4, 0x320
	v_mul_f64 v[10:11], v[58:59], s[10:11]
	v_mul_f64 v[62:63], v[56:57], s[10:11]
	v_cndmask_b32_e64 v4, 0, v4, s[0:1]
	v_fmac_f64_e32 v[10:11], s[20:21], v[52:53]
	v_fmac_f64_e32 v[60:61], s[22:23], v[2:3]
	v_mul_f64 v[58:59], v[58:59], s[20:21]
	v_fmac_f64_e32 v[62:63], s[18:19], v[46:47]
	v_add_u32_e32 v4, 0, v4
	v_lshlrev_b32_e32 v5, 3, v37
	v_add_f64 v[6:7], v[30:31], v[38:39]
	v_add_f64 v[14:15], v[20:21], v[10:11]
	v_fmac_f64_e32 v[58:59], s[2:3], v[52:53]
	v_add_f64 v[52:53], v[0:1], v[60:61]
	v_add_f64 v[2:3], v[12:13], v[62:63]
	v_add_f64 v[10:11], v[20:21], -v[10:11]
	v_add_f64 v[0:1], v[0:1], -v[60:61]
	;; [unrolled: 1-line block ×3, first 2 shown]
	v_add3_u32 v16, v4, v5, v36
	v_add_f64 v[30:31], v[30:31], -v[38:39]
	s_waitcnt lgkmcnt(0)
	; wave barrier
	ds_write2_b64 v16, v[6:7], v[14:15] offset1:10
	ds_write2_b64 v16, v[22:23], v[52:53] offset0:20 offset1:30
	ds_write2_b64 v16, v[2:3], v[30:31] offset0:40 offset1:50
	;; [unrolled: 1-line block ×4, first 2 shown]
	s_waitcnt lgkmcnt(0)
	; wave barrier
	s_waitcnt lgkmcnt(0)
	ds_read2_b64 v[8:11], v35 offset0:100 offset1:120
	ds_read2_b64 v[0:3], v35 offset0:20 offset1:40
	;; [unrolled: 1-line block ×4, first 2 shown]
	ds_read_b64 v[18:19], v34
	ds_read_b64 v[20:21], v35 offset:1440
	v_mul_f64 v[56:57], v[56:57], s[18:19]
	v_fmac_f64_e32 v[56:57], s[2:3], v[46:47]
	v_add_f64 v[46:47], v[28:29], v[48:49]
	v_add_f64 v[38:39], v[54:55], v[58:59]
	;; [unrolled: 1-line block ×3, first 2 shown]
	v_add_f64 v[28:29], v[28:29], -v[48:49]
	v_add_f64 v[48:49], v[54:55], -v[58:59]
	;; [unrolled: 1-line block ×3, first 2 shown]
	s_waitcnt lgkmcnt(0)
	; wave barrier
	s_waitcnt lgkmcnt(0)
	ds_write2_b64 v16, v[46:47], v[38:39] offset1:10
	ds_write2_b64 v16, v[64:65], v[24:25] offset0:20 offset1:30
	ds_write2_b64 v16, v[60:61], v[28:29] offset0:40 offset1:50
	;; [unrolled: 1-line block ×4, first 2 shown]
	s_waitcnt lgkmcnt(0)
	; wave barrier
	s_waitcnt lgkmcnt(0)
	s_and_saveexec_b64 s[0:1], vcc
	s_cbranch_execz .LBB0_14
; %bb.13:
	v_mov_b32_e32 v43, v17
	v_lshl_add_u64 v[50:51], v[42:43], 4, s[8:9]
	global_load_dwordx4 v[22:25], v[50:51], off offset:2400
	global_load_dwordx4 v[26:29], v[50:51], off offset:2080
	;; [unrolled: 1-line block ×5, first 2 shown]
	v_mul_lo_u32 v16, s17, v44
	v_mul_lo_u32 v43, s16, v45
	v_mad_u64_u32 v[44:45], s[0:1], s16, v44, 0
	s_mov_b32 s2, 0x51eb851f
	v_add_u32_e32 v70, 20, v42
	v_add3_u32 v45, v45, v43, v16
	v_mul_hi_u32 v43, v70, s2
	ds_read2_b64 v[50:53], v35 offset0:140 offset1:160
	ds_read2_b64 v[54:57], v35 offset0:60 offset1:80
	;; [unrolled: 1-line block ×4, first 2 shown]
	ds_read_b64 v[66:67], v35 offset:1440
	ds_read_b64 v[68:69], v34
	s_movk_i32 s3, 0x64
	v_mul_hi_u32 v16, v42, s2
	v_lshl_add_u64 v[34:35], v[44:45], 4, s[6:7]
	v_lshrrev_b32_e32 v43, 5, v43
	v_lshrrev_b32_e32 v16, 5, v16
	v_lshl_add_u64 v[40:41], v[40:41], 4, v[34:35]
	v_mul_lo_u32 v34, v43, s3
	v_mul_lo_u32 v16, v16, s3
	v_sub_u32_e32 v34, v70, v34
	v_add_u32_e32 v80, 40, v42
	v_sub_u32_e32 v16, v42, v16
	v_mad_u64_u32 v[34:35], s[0:1], v43, s24, v[34:35]
	v_mul_hi_u32 v71, v80, s2
	v_lshlrev_b32_e32 v16, 4, v16
	v_mov_b32_e32 v35, v17
	v_lshrrev_b32_e32 v81, 5, v71
	v_lshl_add_u64 v[70:71], v[40:41], 0, v[16:17]
	v_add_u32_e32 v16, 0x64, v34
	v_lshl_add_u64 v[72:73], v[34:35], 4, v[40:41]
	v_mul_lo_u32 v82, v81, s3
	v_lshl_add_u64 v[74:75], v[16:17], 4, v[40:41]
	s_waitcnt vmcnt(4)
	v_mul_f64 v[34:35], v[14:15], v[24:25]
	s_waitcnt lgkmcnt(5)
	v_mul_f64 v[24:25], v[52:53], v[24:25]
	s_waitcnt vmcnt(3)
	v_mul_f64 v[44:45], v[12:13], v[28:29]
	v_mul_f64 v[28:29], v[50:51], v[28:29]
	s_waitcnt vmcnt(2)
	v_mul_f64 v[76:77], v[20:21], v[32:33]
	s_waitcnt vmcnt(1)
	v_mul_f64 v[78:79], v[10:11], v[38:39]
	s_waitcnt lgkmcnt(2)
	v_mul_f64 v[38:39], v[64:65], v[38:39]
	s_waitcnt lgkmcnt(1)
	v_mul_f64 v[32:33], v[66:67], v[32:33]
	v_fmac_f64_e32 v[24:25], v[14:15], v[22:23]
	s_waitcnt vmcnt(0)
	v_mul_f64 v[14:15], v[8:9], v[48:49]
	v_mul_f64 v[48:49], v[62:63], v[48:49]
	v_fmac_f64_e32 v[28:29], v[12:13], v[26:27]
	v_fma_f64 v[12:13], v[66:67], v[30:31], -v[76:77]
	v_fmac_f64_e32 v[38:39], v[10:11], v[36:37]
	v_fma_f64 v[34:35], v[52:53], v[22:23], -v[34:35]
	v_fma_f64 v[22:23], v[50:51], v[26:27], -v[44:45]
	v_fmac_f64_e32 v[32:33], v[20:21], v[30:31]
	v_fma_f64 v[26:27], v[64:65], v[36:37], -v[78:79]
	v_fma_f64 v[30:31], v[62:63], v[46:47], -v[14:15]
	v_fmac_f64_e32 v[48:49], v[8:9], v[46:47]
	v_add_f64 v[10:11], v[56:57], -v[12:13]
	v_add_f64 v[12:13], v[4:5], -v[24:25]
	;; [unrolled: 1-line block ×5, first 2 shown]
	s_waitcnt lgkmcnt(0)
	v_add_f64 v[30:31], v[68:69], -v[30:31]
	v_add_f64 v[28:29], v[18:19], -v[48:49]
	v_fma_f64 v[0:1], v[0:1], 2.0, -v[24:25]
	v_fma_f64 v[36:37], v[2:3], 2.0, -v[20:21]
	;; [unrolled: 1-line block ×5, first 2 shown]
	global_store_dwordx4 v[70:71], v[28:31], off offset:1600
	global_store_dwordx4 v[70:71], v[44:47], off
	global_store_dwordx4 v[72:73], v[0:3], off
	;; [unrolled: 1-line block ×3, first 2 shown]
	v_add_f64 v[22:23], v[60:61], -v[22:23]
	v_sub_u32_e32 v0, v80, v82
	v_mad_u64_u32 v[0:1], s[0:1], v81, s24, v[0:1]
	v_mov_b32_e32 v1, v17
	v_add_u32_e32 v16, 0x64, v0
	v_lshl_add_u64 v[2:3], v[0:1], 4, v[40:41]
	v_lshl_add_u64 v[0:1], v[16:17], 4, v[40:41]
	global_store_dwordx4 v[0:1], v[20:23], off
	v_add_u32_e32 v0, 60, v42
	v_mul_hi_u32 v1, v0, s2
	v_fma_f64 v[38:39], v[60:61], 2.0, -v[22:23]
	v_lshrrev_b32_e32 v1, 5, v1
	global_store_dwordx4 v[2:3], v[36:39], off
	v_mul_lo_u32 v2, v1, s3
	v_sub_u32_e32 v0, v0, v2
	v_mad_u64_u32 v[0:1], s[0:1], v1, s24, v[0:1]
	v_mov_b32_e32 v1, v17
	v_add_u32_e32 v16, 0x64, v0
	v_add_f64 v[14:15], v[54:55], -v[34:35]
	v_lshl_add_u64 v[2:3], v[0:1], 4, v[40:41]
	v_lshl_add_u64 v[0:1], v[16:17], 4, v[40:41]
	global_store_dwordx4 v[0:1], v[12:15], off
	v_add_u32_e32 v0, 0x50, v42
	v_add_f64 v[8:9], v[6:7], -v[32:33]
	v_mul_hi_u32 v1, v0, s2
	v_fma_f64 v[32:33], v[6:7], 2.0, -v[8:9]
	v_fma_f64 v[6:7], v[54:55], 2.0, -v[14:15]
	;; [unrolled: 1-line block ×3, first 2 shown]
	v_lshrrev_b32_e32 v1, 5, v1
	global_store_dwordx4 v[2:3], v[4:7], off
	v_mul_lo_u32 v2, v1, s3
	v_sub_u32_e32 v0, v0, v2
	v_mad_u64_u32 v[0:1], s[0:1], v1, s24, v[0:1]
	v_mov_b32_e32 v1, v17
	v_add_u32_e32 v16, 0x64, v0
	v_fma_f64 v[34:35], v[56:57], 2.0, -v[10:11]
	v_lshl_add_u64 v[2:3], v[0:1], 4, v[40:41]
	v_lshl_add_u64 v[0:1], v[16:17], 4, v[40:41]
	global_store_dwordx4 v[2:3], v[32:35], off
	global_store_dwordx4 v[0:1], v[8:11], off
.LBB0_14:
	s_endpgm
	.section	.rodata,"a",@progbits
	.p2align	6, 0x0
	.amdhsa_kernel fft_rtc_back_len200_factors_10_10_2_wgs_60_tpt_20_halfLds_dp_op_CI_CI_unitstride_sbrr_dirReg
		.amdhsa_group_segment_fixed_size 0
		.amdhsa_private_segment_fixed_size 0
		.amdhsa_kernarg_size 104
		.amdhsa_user_sgpr_count 2
		.amdhsa_user_sgpr_dispatch_ptr 0
		.amdhsa_user_sgpr_queue_ptr 0
		.amdhsa_user_sgpr_kernarg_segment_ptr 1
		.amdhsa_user_sgpr_dispatch_id 0
		.amdhsa_user_sgpr_kernarg_preload_length 0
		.amdhsa_user_sgpr_kernarg_preload_offset 0
		.amdhsa_user_sgpr_private_segment_size 0
		.amdhsa_uses_dynamic_stack 0
		.amdhsa_enable_private_segment 0
		.amdhsa_system_sgpr_workgroup_id_x 1
		.amdhsa_system_sgpr_workgroup_id_y 0
		.amdhsa_system_sgpr_workgroup_id_z 0
		.amdhsa_system_sgpr_workgroup_info 0
		.amdhsa_system_vgpr_workitem_id 0
		.amdhsa_next_free_vgpr 83
		.amdhsa_next_free_sgpr 28
		.amdhsa_accum_offset 84
		.amdhsa_reserve_vcc 1
		.amdhsa_float_round_mode_32 0
		.amdhsa_float_round_mode_16_64 0
		.amdhsa_float_denorm_mode_32 3
		.amdhsa_float_denorm_mode_16_64 3
		.amdhsa_dx10_clamp 1
		.amdhsa_ieee_mode 1
		.amdhsa_fp16_overflow 0
		.amdhsa_tg_split 0
		.amdhsa_exception_fp_ieee_invalid_op 0
		.amdhsa_exception_fp_denorm_src 0
		.amdhsa_exception_fp_ieee_div_zero 0
		.amdhsa_exception_fp_ieee_overflow 0
		.amdhsa_exception_fp_ieee_underflow 0
		.amdhsa_exception_fp_ieee_inexact 0
		.amdhsa_exception_int_div_zero 0
	.end_amdhsa_kernel
	.text
.Lfunc_end0:
	.size	fft_rtc_back_len200_factors_10_10_2_wgs_60_tpt_20_halfLds_dp_op_CI_CI_unitstride_sbrr_dirReg, .Lfunc_end0-fft_rtc_back_len200_factors_10_10_2_wgs_60_tpt_20_halfLds_dp_op_CI_CI_unitstride_sbrr_dirReg
                                        ; -- End function
	.section	.AMDGPU.csdata,"",@progbits
; Kernel info:
; codeLenInByte = 5280
; NumSgprs: 34
; NumVgprs: 83
; NumAgprs: 0
; TotalNumVgprs: 83
; ScratchSize: 0
; MemoryBound: 1
; FloatMode: 240
; IeeeMode: 1
; LDSByteSize: 0 bytes/workgroup (compile time only)
; SGPRBlocks: 4
; VGPRBlocks: 10
; NumSGPRsForWavesPerEU: 34
; NumVGPRsForWavesPerEU: 83
; AccumOffset: 84
; Occupancy: 5
; WaveLimiterHint : 1
; COMPUTE_PGM_RSRC2:SCRATCH_EN: 0
; COMPUTE_PGM_RSRC2:USER_SGPR: 2
; COMPUTE_PGM_RSRC2:TRAP_HANDLER: 0
; COMPUTE_PGM_RSRC2:TGID_X_EN: 1
; COMPUTE_PGM_RSRC2:TGID_Y_EN: 0
; COMPUTE_PGM_RSRC2:TGID_Z_EN: 0
; COMPUTE_PGM_RSRC2:TIDIG_COMP_CNT: 0
; COMPUTE_PGM_RSRC3_GFX90A:ACCUM_OFFSET: 20
; COMPUTE_PGM_RSRC3_GFX90A:TG_SPLIT: 0
	.text
	.p2alignl 6, 3212836864
	.fill 256, 4, 3212836864
	.type	__hip_cuid_fc6146dcdeac7df4,@object ; @__hip_cuid_fc6146dcdeac7df4
	.section	.bss,"aw",@nobits
	.globl	__hip_cuid_fc6146dcdeac7df4
__hip_cuid_fc6146dcdeac7df4:
	.byte	0                               ; 0x0
	.size	__hip_cuid_fc6146dcdeac7df4, 1

	.ident	"AMD clang version 19.0.0git (https://github.com/RadeonOpenCompute/llvm-project roc-6.4.0 25133 c7fe45cf4b819c5991fe208aaa96edf142730f1d)"
	.section	".note.GNU-stack","",@progbits
	.addrsig
	.addrsig_sym __hip_cuid_fc6146dcdeac7df4
	.amdgpu_metadata
---
amdhsa.kernels:
  - .agpr_count:     0
    .args:
      - .actual_access:  read_only
        .address_space:  global
        .offset:         0
        .size:           8
        .value_kind:     global_buffer
      - .offset:         8
        .size:           8
        .value_kind:     by_value
      - .actual_access:  read_only
        .address_space:  global
        .offset:         16
        .size:           8
        .value_kind:     global_buffer
      - .actual_access:  read_only
        .address_space:  global
        .offset:         24
        .size:           8
        .value_kind:     global_buffer
      - .actual_access:  read_only
        .address_space:  global
        .offset:         32
        .size:           8
        .value_kind:     global_buffer
      - .offset:         40
        .size:           8
        .value_kind:     by_value
      - .actual_access:  read_only
        .address_space:  global
        .offset:         48
        .size:           8
        .value_kind:     global_buffer
      - .actual_access:  read_only
        .address_space:  global
        .offset:         56
        .size:           8
        .value_kind:     global_buffer
      - .offset:         64
        .size:           4
        .value_kind:     by_value
      - .actual_access:  read_only
        .address_space:  global
        .offset:         72
        .size:           8
        .value_kind:     global_buffer
      - .actual_access:  read_only
        .address_space:  global
        .offset:         80
        .size:           8
        .value_kind:     global_buffer
      - .actual_access:  read_only
        .address_space:  global
        .offset:         88
        .size:           8
        .value_kind:     global_buffer
      - .actual_access:  write_only
        .address_space:  global
        .offset:         96
        .size:           8
        .value_kind:     global_buffer
    .group_segment_fixed_size: 0
    .kernarg_segment_align: 8
    .kernarg_segment_size: 104
    .language:       OpenCL C
    .language_version:
      - 2
      - 0
    .max_flat_workgroup_size: 60
    .name:           fft_rtc_back_len200_factors_10_10_2_wgs_60_tpt_20_halfLds_dp_op_CI_CI_unitstride_sbrr_dirReg
    .private_segment_fixed_size: 0
    .sgpr_count:     34
    .sgpr_spill_count: 0
    .symbol:         fft_rtc_back_len200_factors_10_10_2_wgs_60_tpt_20_halfLds_dp_op_CI_CI_unitstride_sbrr_dirReg.kd
    .uniform_work_group_size: 1
    .uses_dynamic_stack: false
    .vgpr_count:     83
    .vgpr_spill_count: 0
    .wavefront_size: 64
amdhsa.target:   amdgcn-amd-amdhsa--gfx950
amdhsa.version:
  - 1
  - 2
...

	.end_amdgpu_metadata
